;; amdgpu-corpus repo=ROCm/rocFFT kind=compiled arch=gfx1030 opt=O3
	.text
	.amdgcn_target "amdgcn-amd-amdhsa--gfx1030"
	.amdhsa_code_object_version 6
	.protected	fft_rtc_back_len1350_factors_5_10_3_3_3_wgs_135_tpt_135_halfLds_dp_op_CI_CI_unitstride_sbrr_C2R_dirReg ; -- Begin function fft_rtc_back_len1350_factors_5_10_3_3_3_wgs_135_tpt_135_halfLds_dp_op_CI_CI_unitstride_sbrr_C2R_dirReg
	.globl	fft_rtc_back_len1350_factors_5_10_3_3_3_wgs_135_tpt_135_halfLds_dp_op_CI_CI_unitstride_sbrr_C2R_dirReg
	.p2align	8
	.type	fft_rtc_back_len1350_factors_5_10_3_3_3_wgs_135_tpt_135_halfLds_dp_op_CI_CI_unitstride_sbrr_C2R_dirReg,@function
fft_rtc_back_len1350_factors_5_10_3_3_3_wgs_135_tpt_135_halfLds_dp_op_CI_CI_unitstride_sbrr_C2R_dirReg: ; @fft_rtc_back_len1350_factors_5_10_3_3_3_wgs_135_tpt_135_halfLds_dp_op_CI_CI_unitstride_sbrr_C2R_dirReg
; %bb.0:
	s_clause 0x2
	s_load_dwordx4 s[12:15], s[4:5], 0x0
	s_load_dwordx4 s[8:11], s[4:5], 0x58
	;; [unrolled: 1-line block ×3, first 2 shown]
	v_mul_u32_u24_e32 v1, 0x1e6, v0
	v_mov_b32_e32 v3, 0
	v_add_nc_u32_sdwa v5, s6, v1 dst_sel:DWORD dst_unused:UNUSED_PAD src0_sel:DWORD src1_sel:WORD_1
	v_mov_b32_e32 v1, 0
	v_mov_b32_e32 v6, v3
	v_mov_b32_e32 v2, 0
	s_waitcnt lgkmcnt(0)
	v_cmp_lt_u64_e64 s0, s[14:15], 2
	s_and_b32 vcc_lo, exec_lo, s0
	s_cbranch_vccnz .LBB0_8
; %bb.1:
	s_load_dwordx2 s[0:1], s[4:5], 0x10
	v_mov_b32_e32 v1, 0
	v_mov_b32_e32 v2, 0
	s_add_u32 s2, s18, 8
	s_addc_u32 s3, s19, 0
	s_add_u32 s6, s16, 8
	s_addc_u32 s7, s17, 0
	v_mov_b32_e32 v49, v2
	v_mov_b32_e32 v48, v1
	s_mov_b64 s[22:23], 1
	s_waitcnt lgkmcnt(0)
	s_add_u32 s20, s0, 8
	s_addc_u32 s21, s1, 0
.LBB0_2:                                ; =>This Inner Loop Header: Depth=1
	s_load_dwordx2 s[24:25], s[20:21], 0x0
                                        ; implicit-def: $vgpr50_vgpr51
	s_mov_b32 s0, exec_lo
	s_waitcnt lgkmcnt(0)
	v_or_b32_e32 v4, s25, v6
	v_cmpx_ne_u64_e32 0, v[3:4]
	s_xor_b32 s1, exec_lo, s0
	s_cbranch_execz .LBB0_4
; %bb.3:                                ;   in Loop: Header=BB0_2 Depth=1
	v_cvt_f32_u32_e32 v4, s24
	v_cvt_f32_u32_e32 v7, s25
	s_sub_u32 s0, 0, s24
	s_subb_u32 s26, 0, s25
	v_fmac_f32_e32 v4, 0x4f800000, v7
	v_rcp_f32_e32 v4, v4
	v_mul_f32_e32 v4, 0x5f7ffffc, v4
	v_mul_f32_e32 v7, 0x2f800000, v4
	v_trunc_f32_e32 v7, v7
	v_fmac_f32_e32 v4, 0xcf800000, v7
	v_cvt_u32_f32_e32 v7, v7
	v_cvt_u32_f32_e32 v4, v4
	v_mul_lo_u32 v8, s0, v7
	v_mul_hi_u32 v9, s0, v4
	v_mul_lo_u32 v10, s26, v4
	v_add_nc_u32_e32 v8, v9, v8
	v_mul_lo_u32 v9, s0, v4
	v_add_nc_u32_e32 v8, v8, v10
	v_mul_hi_u32 v10, v4, v9
	v_mul_lo_u32 v11, v4, v8
	v_mul_hi_u32 v12, v4, v8
	v_mul_hi_u32 v13, v7, v9
	v_mul_lo_u32 v9, v7, v9
	v_mul_hi_u32 v14, v7, v8
	v_mul_lo_u32 v8, v7, v8
	v_add_co_u32 v10, vcc_lo, v10, v11
	v_add_co_ci_u32_e32 v11, vcc_lo, 0, v12, vcc_lo
	v_add_co_u32 v9, vcc_lo, v10, v9
	v_add_co_ci_u32_e32 v9, vcc_lo, v11, v13, vcc_lo
	v_add_co_ci_u32_e32 v10, vcc_lo, 0, v14, vcc_lo
	v_add_co_u32 v8, vcc_lo, v9, v8
	v_add_co_ci_u32_e32 v9, vcc_lo, 0, v10, vcc_lo
	v_add_co_u32 v4, vcc_lo, v4, v8
	v_add_co_ci_u32_e32 v7, vcc_lo, v7, v9, vcc_lo
	v_mul_hi_u32 v8, s0, v4
	v_mul_lo_u32 v10, s26, v4
	v_mul_lo_u32 v9, s0, v7
	v_add_nc_u32_e32 v8, v8, v9
	v_mul_lo_u32 v9, s0, v4
	v_add_nc_u32_e32 v8, v8, v10
	v_mul_hi_u32 v10, v4, v9
	v_mul_lo_u32 v11, v4, v8
	v_mul_hi_u32 v12, v4, v8
	v_mul_hi_u32 v13, v7, v9
	v_mul_lo_u32 v9, v7, v9
	v_mul_hi_u32 v14, v7, v8
	v_mul_lo_u32 v8, v7, v8
	v_add_co_u32 v10, vcc_lo, v10, v11
	v_add_co_ci_u32_e32 v11, vcc_lo, 0, v12, vcc_lo
	v_add_co_u32 v9, vcc_lo, v10, v9
	v_add_co_ci_u32_e32 v9, vcc_lo, v11, v13, vcc_lo
	v_add_co_ci_u32_e32 v10, vcc_lo, 0, v14, vcc_lo
	v_add_co_u32 v8, vcc_lo, v9, v8
	v_add_co_ci_u32_e32 v9, vcc_lo, 0, v10, vcc_lo
	v_add_co_u32 v4, vcc_lo, v4, v8
	v_add_co_ci_u32_e32 v11, vcc_lo, v7, v9, vcc_lo
	v_mul_hi_u32 v13, v5, v4
	v_mad_u64_u32 v[9:10], null, v6, v4, 0
	v_mad_u64_u32 v[7:8], null, v5, v11, 0
	;; [unrolled: 1-line block ×3, first 2 shown]
	v_add_co_u32 v4, vcc_lo, v13, v7
	v_add_co_ci_u32_e32 v7, vcc_lo, 0, v8, vcc_lo
	v_add_co_u32 v4, vcc_lo, v4, v9
	v_add_co_ci_u32_e32 v4, vcc_lo, v7, v10, vcc_lo
	v_add_co_ci_u32_e32 v7, vcc_lo, 0, v12, vcc_lo
	v_add_co_u32 v4, vcc_lo, v4, v11
	v_add_co_ci_u32_e32 v9, vcc_lo, 0, v7, vcc_lo
	v_mul_lo_u32 v10, s25, v4
	v_mad_u64_u32 v[7:8], null, s24, v4, 0
	v_mul_lo_u32 v11, s24, v9
	v_sub_co_u32 v7, vcc_lo, v5, v7
	v_add3_u32 v8, v8, v11, v10
	v_sub_nc_u32_e32 v10, v6, v8
	v_subrev_co_ci_u32_e64 v10, s0, s25, v10, vcc_lo
	v_add_co_u32 v11, s0, v4, 2
	v_add_co_ci_u32_e64 v12, s0, 0, v9, s0
	v_sub_co_u32 v13, s0, v7, s24
	v_sub_co_ci_u32_e32 v8, vcc_lo, v6, v8, vcc_lo
	v_subrev_co_ci_u32_e64 v10, s0, 0, v10, s0
	v_cmp_le_u32_e32 vcc_lo, s24, v13
	v_cmp_eq_u32_e64 s0, s25, v8
	v_cndmask_b32_e64 v13, 0, -1, vcc_lo
	v_cmp_le_u32_e32 vcc_lo, s25, v10
	v_cndmask_b32_e64 v14, 0, -1, vcc_lo
	v_cmp_le_u32_e32 vcc_lo, s24, v7
	;; [unrolled: 2-line block ×3, first 2 shown]
	v_cndmask_b32_e64 v15, 0, -1, vcc_lo
	v_cmp_eq_u32_e32 vcc_lo, s25, v10
	v_cndmask_b32_e64 v7, v15, v7, s0
	v_cndmask_b32_e32 v10, v14, v13, vcc_lo
	v_add_co_u32 v13, vcc_lo, v4, 1
	v_add_co_ci_u32_e32 v14, vcc_lo, 0, v9, vcc_lo
	v_cmp_ne_u32_e32 vcc_lo, 0, v10
	v_cndmask_b32_e32 v8, v14, v12, vcc_lo
	v_cndmask_b32_e32 v10, v13, v11, vcc_lo
	v_cmp_ne_u32_e32 vcc_lo, 0, v7
	v_cndmask_b32_e32 v51, v9, v8, vcc_lo
	v_cndmask_b32_e32 v50, v4, v10, vcc_lo
.LBB0_4:                                ;   in Loop: Header=BB0_2 Depth=1
	s_andn2_saveexec_b32 s0, s1
	s_cbranch_execz .LBB0_6
; %bb.5:                                ;   in Loop: Header=BB0_2 Depth=1
	v_cvt_f32_u32_e32 v4, s24
	s_sub_i32 s1, 0, s24
	v_mov_b32_e32 v51, v3
	v_rcp_iflag_f32_e32 v4, v4
	v_mul_f32_e32 v4, 0x4f7ffffe, v4
	v_cvt_u32_f32_e32 v4, v4
	v_mul_lo_u32 v7, s1, v4
	v_mul_hi_u32 v7, v4, v7
	v_add_nc_u32_e32 v4, v4, v7
	v_mul_hi_u32 v4, v5, v4
	v_mul_lo_u32 v7, v4, s24
	v_add_nc_u32_e32 v8, 1, v4
	v_sub_nc_u32_e32 v7, v5, v7
	v_subrev_nc_u32_e32 v9, s24, v7
	v_cmp_le_u32_e32 vcc_lo, s24, v7
	v_cndmask_b32_e32 v7, v7, v9, vcc_lo
	v_cndmask_b32_e32 v4, v4, v8, vcc_lo
	v_cmp_le_u32_e32 vcc_lo, s24, v7
	v_add_nc_u32_e32 v8, 1, v4
	v_cndmask_b32_e32 v50, v4, v8, vcc_lo
.LBB0_6:                                ;   in Loop: Header=BB0_2 Depth=1
	s_or_b32 exec_lo, exec_lo, s0
	v_mul_lo_u32 v4, v51, s24
	v_mul_lo_u32 v9, v50, s25
	s_load_dwordx2 s[0:1], s[6:7], 0x0
	v_mad_u64_u32 v[7:8], null, v50, s24, 0
	s_load_dwordx2 s[24:25], s[2:3], 0x0
	s_add_u32 s22, s22, 1
	s_addc_u32 s23, s23, 0
	s_add_u32 s2, s2, 8
	s_addc_u32 s3, s3, 0
	s_add_u32 s6, s6, 8
	v_add3_u32 v4, v8, v9, v4
	v_sub_co_u32 v5, vcc_lo, v5, v7
	s_addc_u32 s7, s7, 0
	s_add_u32 s20, s20, 8
	v_sub_co_ci_u32_e32 v4, vcc_lo, v6, v4, vcc_lo
	s_addc_u32 s21, s21, 0
	s_waitcnt lgkmcnt(0)
	v_mul_lo_u32 v6, s0, v4
	v_mul_lo_u32 v7, s1, v5
	v_mad_u64_u32 v[1:2], null, s0, v5, v[1:2]
	v_mul_lo_u32 v4, s24, v4
	v_mul_lo_u32 v8, s25, v5
	v_mad_u64_u32 v[48:49], null, s24, v5, v[48:49]
	v_cmp_ge_u64_e64 s0, s[22:23], s[14:15]
	v_add3_u32 v2, v7, v2, v6
	v_add3_u32 v49, v8, v49, v4
	s_and_b32 vcc_lo, exec_lo, s0
	s_cbranch_vccnz .LBB0_9
; %bb.7:                                ;   in Loop: Header=BB0_2 Depth=1
	v_mov_b32_e32 v5, v50
	v_mov_b32_e32 v6, v51
	s_branch .LBB0_2
.LBB0_8:
	v_mov_b32_e32 v49, v2
	v_mov_b32_e32 v51, v6
	;; [unrolled: 1-line block ×4, first 2 shown]
.LBB0_9:
	s_load_dwordx2 s[0:1], s[4:5], 0x28
	v_mul_hi_u32 v3, 0x1e573ad, v0
	s_lshl_b64 s[4:5], s[14:15], 3
                                        ; implicit-def: $vgpr52
	s_add_u32 s2, s18, s4
	s_addc_u32 s3, s19, s5
	s_waitcnt lgkmcnt(0)
	v_cmp_gt_u64_e32 vcc_lo, s[0:1], v[50:51]
	v_cmp_le_u64_e64 s0, s[0:1], v[50:51]
	s_and_saveexec_b32 s1, s0
	s_xor_b32 s0, exec_lo, s1
; %bb.10:
	v_mul_u32_u24_e32 v1, 0x87, v3
                                        ; implicit-def: $vgpr3
	v_sub_nc_u32_e32 v52, v0, v1
                                        ; implicit-def: $vgpr0
                                        ; implicit-def: $vgpr1_vgpr2
; %bb.11:
	s_or_saveexec_b32 s1, s0
	s_load_dwordx2 s[2:3], s[2:3], 0x0
	s_xor_b32 exec_lo, exec_lo, s1
	s_cbranch_execz .LBB0_15
; %bb.12:
	s_add_u32 s4, s16, s4
	s_addc_u32 s5, s17, s5
	v_lshlrev_b64 v[1:2], 4, v[1:2]
	s_load_dwordx2 s[4:5], s[4:5], 0x0
	s_waitcnt lgkmcnt(0)
	v_mul_lo_u32 v6, s5, v50
	v_mul_lo_u32 v7, s4, v51
	v_mad_u64_u32 v[4:5], null, s4, v50, 0
	s_mov_b32 s4, exec_lo
	v_add3_u32 v5, v5, v7, v6
	v_mul_u32_u24_e32 v6, 0x87, v3
	v_lshlrev_b64 v[3:4], 4, v[4:5]
	v_sub_nc_u32_e32 v52, v0, v6
	v_lshlrev_b32_e32 v42, 4, v52
	v_add_co_u32 v0, s0, s8, v3
	v_add_co_ci_u32_e64 v3, s0, s9, v4, s0
	v_add_co_u32 v0, s0, v0, v1
	v_add_co_ci_u32_e64 v1, s0, v3, v2, s0
	;; [unrolled: 2-line block ×3, first 2 shown]
	v_add_nc_u32_e32 v42, 0, v42
	v_add_co_u32 v6, s0, 0x800, v2
	v_add_co_ci_u32_e64 v7, s0, 0, v3, s0
	v_add_co_u32 v10, s0, 0x1000, v2
	v_add_co_ci_u32_e64 v11, s0, 0, v3, s0
	;; [unrolled: 2-line block ×9, first 2 shown]
	s_clause 0x9
	global_load_dwordx4 v[2:5], v[2:3], off
	global_load_dwordx4 v[6:9], v[6:7], off offset:112
	global_load_dwordx4 v[10:13], v[10:11], off offset:224
	;; [unrolled: 1-line block ×9, first 2 shown]
	s_waitcnt vmcnt(9)
	ds_write_b128 v42, v[2:5]
	s_waitcnt vmcnt(8)
	ds_write_b128 v42, v[6:9] offset:2160
	s_waitcnt vmcnt(7)
	ds_write_b128 v42, v[10:13] offset:4320
	;; [unrolled: 2-line block ×9, first 2 shown]
	v_cmpx_eq_u32_e32 0x86, v52
	s_cbranch_execz .LBB0_14
; %bb.13:
	v_add_co_u32 v0, s0, 0x5000, v0
	v_add_co_ci_u32_e64 v1, s0, 0, v1, s0
	v_mov_b32_e32 v4, 0
	v_mov_b32_e32 v52, 0x86
	global_load_dwordx4 v[0:3], v[0:1], off offset:1120
	s_waitcnt vmcnt(0)
	ds_write_b128 v4, v[0:3] offset:21600
.LBB0_14:
	s_or_b32 exec_lo, exec_lo, s4
.LBB0_15:
	s_or_b32 exec_lo, exec_lo, s1
	v_lshlrev_b32_e32 v0, 4, v52
	s_waitcnt lgkmcnt(0)
	s_barrier
	buffer_gl0_inv
	s_add_u32 s1, s12, 0x5410
	v_add_nc_u32_e32 v59, 0, v0
	v_sub_nc_u32_e32 v8, 0, v0
	s_addc_u32 s4, s13, 0
	s_mov_b32 s5, exec_lo
	ds_read_b64 v[4:5], v59
	ds_read_b64 v[6:7], v8 offset:21600
	s_waitcnt lgkmcnt(0)
	v_add_f64 v[0:1], v[4:5], v[6:7]
	v_add_f64 v[2:3], v[4:5], -v[6:7]
	v_cmpx_ne_u32_e32 0, v52
	s_xor_b32 s5, exec_lo, s5
	s_cbranch_execz .LBB0_17
; %bb.16:
	v_mov_b32_e32 v53, 0
	v_add_f64 v[13:14], v[4:5], v[6:7]
	v_add_f64 v[15:16], v[4:5], -v[6:7]
	v_lshlrev_b64 v[0:1], 4, v[52:53]
	v_add_co_u32 v0, s0, s1, v0
	v_add_co_ci_u32_e64 v1, s0, s4, v1, s0
	global_load_dwordx4 v[9:12], v[0:1], off
	ds_read_b64 v[0:1], v8 offset:21608
	ds_read_b64 v[2:3], v59 offset:8
	s_waitcnt lgkmcnt(0)
	v_add_f64 v[4:5], v[0:1], v[2:3]
	v_add_f64 v[0:1], v[2:3], -v[0:1]
	s_waitcnt vmcnt(0)
	v_fma_f64 v[2:3], v[15:16], v[11:12], v[13:14]
	v_fma_f64 v[6:7], -v[15:16], v[11:12], v[13:14]
	v_fma_f64 v[13:14], v[4:5], v[11:12], -v[0:1]
	v_fma_f64 v[11:12], v[4:5], v[11:12], v[0:1]
	v_fma_f64 v[0:1], -v[4:5], v[9:10], v[2:3]
	v_fma_f64 v[4:5], v[4:5], v[9:10], v[6:7]
	v_fma_f64 v[6:7], v[15:16], v[9:10], v[13:14]
	;; [unrolled: 1-line block ×3, first 2 shown]
	ds_write_b128 v8, v[4:7] offset:21600
.LBB0_17:
	s_andn2_saveexec_b32 s0, s5
	s_cbranch_execz .LBB0_19
; %bb.18:
	v_mov_b32_e32 v9, 0
	ds_read_b128 v[4:7], v9 offset:10800
	s_waitcnt lgkmcnt(0)
	v_add_f64 v[4:5], v[4:5], v[4:5]
	v_mul_f64 v[6:7], v[6:7], -2.0
	ds_write_b128 v9, v[4:7] offset:10800
.LBB0_19:
	s_or_b32 exec_lo, exec_lo, s0
	v_add_nc_u32_e32 v55, 0x87, v52
	v_mov_b32_e32 v56, 0
	v_add_nc_u32_e32 v57, 0x10e, v52
	v_add_nc_u32_e32 v53, 0x195, v52
	;; [unrolled: 1-line block ×3, first 2 shown]
	ds_write_b128 v59, v[0:3]
	v_lshlrev_b64 v[4:5], 4, v[55:56]
	v_mov_b32_e32 v58, v56
	v_mov_b32_e32 v54, v56
	;; [unrolled: 1-line block ×3, first 2 shown]
	s_mov_b32 s6, 0x4755a5e
	s_mov_b32 s7, 0xbfe2cf23
	v_add_co_u32 v4, s0, s1, v4
	v_add_co_ci_u32_e64 v5, s0, s4, v5, s0
	v_lshlrev_b64 v[9:10], 4, v[57:58]
	v_lshlrev_b64 v[13:14], 4, v[53:54]
	;; [unrolled: 1-line block ×3, first 2 shown]
	global_load_dwordx4 v[4:7], v[4:5], off
	s_mov_b32 s9, 0x3fe2cf23
	s_mov_b32 s8, s6
	v_add_co_u32 v9, s0, s1, v9
	v_add_co_ci_u32_e64 v10, s0, s4, v10, s0
	v_add_co_u32 v13, s0, s1, v13
	v_add_co_ci_u32_e64 v14, s0, s4, v14, s0
	global_load_dwordx4 v[9:12], v[9:10], off
	v_add_co_u32 v21, s0, s1, v17
	global_load_dwordx4 v[13:16], v[13:14], off
	v_add_co_ci_u32_e64 v22, s0, s4, v18, s0
	ds_read_b128 v[0:3], v59 offset:2160
	ds_read_b128 v[17:20], v8 offset:19440
	s_mov_b32 s4, 0x134454ff
	s_mov_b32 s5, 0xbfee6f0e
	global_load_dwordx4 v[21:24], v[21:22], off
	s_mov_b32 s1, 0x3fee6f0e
	s_mov_b32 s0, s4
	v_and_b32_e32 v54, 0xff, v52
	s_mov_b32 s14, 0x372fe950
	s_mov_b32 s15, 0x3fd3c6ef
	;; [unrolled: 1-line block ×4, first 2 shown]
	v_mul_lo_u16 v56, 0xcd, v54
	s_mov_b32 s19, 0xbfd3c6ef
	s_mov_b32 s18, s14
	;; [unrolled: 1-line block ×4, first 2 shown]
	v_mov_b32_e32 v58, 0x320
	s_waitcnt lgkmcnt(0)
	v_add_f64 v[25:26], v[0:1], v[17:18]
	v_add_f64 v[27:28], v[19:20], v[2:3]
	v_add_f64 v[29:30], v[0:1], -v[17:18]
	v_add_f64 v[0:1], v[2:3], -v[19:20]
	s_waitcnt vmcnt(3)
	v_fma_f64 v[2:3], v[29:30], v[6:7], v[25:26]
	v_fma_f64 v[17:18], v[27:28], v[6:7], v[0:1]
	v_fma_f64 v[19:20], -v[29:30], v[6:7], v[25:26]
	v_fma_f64 v[6:7], v[27:28], v[6:7], -v[0:1]
	v_fma_f64 v[0:1], -v[27:28], v[4:5], v[2:3]
	v_fma_f64 v[2:3], v[29:30], v[4:5], v[17:18]
	v_fma_f64 v[17:18], v[27:28], v[4:5], v[19:20]
	v_fma_f64 v[19:20], v[29:30], v[4:5], v[6:7]
	ds_write_b128 v59, v[0:3] offset:2160
	ds_write_b128 v8, v[17:20] offset:19440
	ds_read_b128 v[0:3], v59 offset:4320
	ds_read_b128 v[4:7], v8 offset:17280
	s_waitcnt lgkmcnt(0)
	v_add_f64 v[17:18], v[0:1], v[4:5]
	v_add_f64 v[19:20], v[6:7], v[2:3]
	v_add_f64 v[25:26], v[0:1], -v[4:5]
	v_add_f64 v[0:1], v[2:3], -v[6:7]
	s_waitcnt vmcnt(2)
	v_fma_f64 v[2:3], v[25:26], v[11:12], v[17:18]
	v_fma_f64 v[4:5], v[19:20], v[11:12], v[0:1]
	v_fma_f64 v[6:7], -v[25:26], v[11:12], v[17:18]
	v_fma_f64 v[11:12], v[19:20], v[11:12], -v[0:1]
	v_fma_f64 v[0:1], -v[19:20], v[9:10], v[2:3]
	v_fma_f64 v[2:3], v[25:26], v[9:10], v[4:5]
	v_fma_f64 v[4:5], v[19:20], v[9:10], v[6:7]
	v_fma_f64 v[6:7], v[25:26], v[9:10], v[11:12]
	ds_write_b128 v59, v[0:3] offset:4320
	ds_write_b128 v8, v[4:7] offset:17280
	ds_read_b128 v[0:3], v59 offset:6480
	ds_read_b128 v[4:7], v8 offset:15120
	;; [unrolled: 18-line block ×3, first 2 shown]
	s_waitcnt lgkmcnt(0)
	v_add_f64 v[9:10], v[0:1], v[4:5]
	v_add_f64 v[11:12], v[6:7], v[2:3]
	v_add_f64 v[13:14], v[0:1], -v[4:5]
	v_add_f64 v[0:1], v[2:3], -v[6:7]
	s_waitcnt vmcnt(0)
	v_fma_f64 v[2:3], v[13:14], v[23:24], v[9:10]
	v_fma_f64 v[4:5], v[11:12], v[23:24], v[0:1]
	v_fma_f64 v[6:7], -v[13:14], v[23:24], v[9:10]
	v_fma_f64 v[9:10], v[11:12], v[23:24], -v[0:1]
	v_fma_f64 v[0:1], -v[11:12], v[21:22], v[2:3]
	v_fma_f64 v[2:3], v[13:14], v[21:22], v[4:5]
	v_fma_f64 v[4:5], v[11:12], v[21:22], v[6:7]
	;; [unrolled: 1-line block ×3, first 2 shown]
	ds_write_b128 v59, v[0:3] offset:8640
	ds_write_b128 v8, v[4:7] offset:12960
	s_waitcnt lgkmcnt(0)
	s_barrier
	buffer_gl0_inv
	s_barrier
	buffer_gl0_inv
	ds_read_b128 v[0:3], v59
	ds_read_b128 v[4:7], v59 offset:4320
	ds_read_b128 v[8:11], v59 offset:8640
	;; [unrolled: 1-line block ×9, first 2 shown]
	s_waitcnt lgkmcnt(0)
	s_barrier
	buffer_gl0_inv
	v_add_f64 v[40:41], v[0:1], v[4:5]
	v_add_f64 v[42:43], v[2:3], v[6:7]
	;; [unrolled: 1-line block ×3, first 2 shown]
	v_add_f64 v[62:63], v[8:9], -v[4:5]
	v_add_f64 v[64:65], v[4:5], v[16:17]
	v_add_f64 v[66:67], v[10:11], v[14:15]
	;; [unrolled: 1-line block ×9, first 2 shown]
	v_add_f64 v[90:91], v[12:13], -v[16:17]
	v_add_f64 v[72:73], v[6:7], -v[10:11]
	;; [unrolled: 1-line block ×9, first 2 shown]
	v_add_f64 v[8:9], v[40:41], v[8:9]
	v_add_f64 v[10:11], v[42:43], v[10:11]
	v_add_f64 v[40:41], v[14:15], -v[18:19]
	v_add_f64 v[42:43], v[26:27], -v[30:31]
	v_fma_f64 v[44:45], v[44:45], -0.5, v[0:1]
	v_fma_f64 v[0:1], v[64:65], -0.5, v[0:1]
	;; [unrolled: 1-line block ×4, first 2 shown]
	v_add_f64 v[66:67], v[20:21], -v[24:25]
	v_add_f64 v[68:69], v[24:25], -v[20:21]
	v_fma_f64 v[74:75], v[74:75], -0.5, v[36:37]
	v_fma_f64 v[36:37], v[76:77], -0.5, v[36:37]
	;; [unrolled: 1-line block ×4, first 2 shown]
	v_add_f64 v[78:79], v[24:25], -v[28:29]
	v_add_f64 v[80:81], v[22:23], -v[26:27]
	v_add_f64 v[24:25], v[84:85], v[24:25]
	v_add_f64 v[84:85], v[86:87], v[26:27]
	v_add_f64 v[26:27], v[26:27], -v[22:23]
	v_add_f64 v[62:63], v[62:63], v[90:91]
	v_add_f64 v[90:91], v[30:31], -v[34:35]
	v_add_f64 v[4:5], v[16:17], -v[12:13]
	;; [unrolled: 1-line block ×4, first 2 shown]
	v_add_f64 v[72:73], v[72:73], v[92:93]
	v_add_f64 v[92:93], v[34:35], -v[30:31]
	v_add_f64 v[86:87], v[32:33], -v[28:29]
	v_add_f64 v[40:41], v[82:83], v[40:41]
	v_add_f64 v[8:9], v[8:9], v[12:13]
	;; [unrolled: 1-line block ×4, first 2 shown]
	v_fma_f64 v[24:25], v[6:7], s[4:5], v[44:45]
	v_add_f64 v[14:15], v[84:85], v[30:31]
	v_fma_f64 v[30:31], v[88:89], s[4:5], v[64:65]
	v_add_f64 v[82:83], v[26:27], v[90:91]
	;; [unrolled: 2-line block ×3, first 2 shown]
	v_add_f64 v[4:5], v[28:29], -v[32:33]
	v_fma_f64 v[28:29], v[6:7], s[0:1], v[44:45]
	v_fma_f64 v[44:45], v[46:47], s[0:1], v[0:1]
	;; [unrolled: 1-line block ×5, first 2 shown]
	v_add_f64 v[80:81], v[80:81], v[92:93]
	v_fma_f64 v[84:85], v[42:43], s[0:1], v[36:37]
	v_fma_f64 v[36:37], v[42:43], s[4:5], v[36:37]
	;; [unrolled: 1-line block ×4, first 2 shown]
	v_add_f64 v[66:67], v[66:67], v[86:87]
	v_fma_f64 v[86:87], v[78:79], s[4:5], v[38:39]
	v_fma_f64 v[38:39], v[78:79], s[0:1], v[38:39]
	;; [unrolled: 1-line block ×7, first 2 shown]
	v_add_f64 v[68:69], v[68:69], v[4:5]
	v_fma_f64 v[28:29], v[46:47], s[8:9], v[28:29]
	v_fma_f64 v[44:45], v[6:7], s[6:7], v[44:45]
	;; [unrolled: 1-line block ×5, first 2 shown]
	v_lshrrev_b16 v4, 10, v56
	v_fma_f64 v[84:85], v[22:23], s[6:7], v[84:85]
	v_fma_f64 v[36:37], v[22:23], s[8:9], v[36:37]
	;; [unrolled: 1-line block ×4, first 2 shown]
	v_add_f64 v[0:1], v[8:9], v[16:17]
	v_fma_f64 v[86:87], v[20:21], s[8:9], v[86:87]
	v_fma_f64 v[38:39], v[20:21], s[6:7], v[38:39]
	;; [unrolled: 1-line block ×4, first 2 shown]
	v_add_f64 v[2:3], v[10:11], v[18:19]
	v_add_f64 v[6:7], v[12:13], v[32:33]
	;; [unrolled: 1-line block ×3, first 2 shown]
	v_mul_lo_u16 v5, v4, 5
	v_fma_f64 v[10:11], v[60:61], s[14:15], v[24:25]
	v_fma_f64 v[12:13], v[72:73], s[14:15], v[26:27]
	v_fma_f64 v[16:17], v[72:73], s[14:15], v[30:31]
	v_fma_f64 v[14:15], v[60:61], s[14:15], v[28:29]
	v_fma_f64 v[18:19], v[62:63], s[14:15], v[44:45]
	v_fma_f64 v[20:21], v[40:41], s[14:15], v[46:47]
	v_fma_f64 v[22:23], v[62:63], s[14:15], v[64:65]
	v_fma_f64 v[24:25], v[40:41], s[14:15], v[70:71]
	v_mov_b32_e32 v56, 9
	v_sub_nc_u16 v5, v52, v5
	v_fma_f64 v[30:31], v[68:69], s[14:15], v[36:37]
	v_fma_f64 v[34:35], v[66:67], s[14:15], v[88:89]
	;; [unrolled: 1-line block ×8, first 2 shown]
	v_mul_u32_u24_sdwa v42, v5, v56 dst_sel:DWORD dst_unused:UNUSED_PAD src0_sel:BYTE_0 src1_sel:DWORD
	v_lshl_add_u32 v43, v52, 6, v59
	ds_write_b128 v43, v[0:3]
	ds_write_b128 v43, v[6:9] offset:10800
	ds_write_b128 v43, v[10:13] offset:16
	;; [unrolled: 1-line block ×9, first 2 shown]
	v_lshlrev_b32_e32 v42, 4, v42
	s_waitcnt lgkmcnt(0)
	s_barrier
	buffer_gl0_inv
	s_clause 0x8
	global_load_dwordx4 v[0:3], v42, s[12:13] offset:16
	global_load_dwordx4 v[6:9], v42, s[12:13] offset:48
	;; [unrolled: 1-line block ×8, first 2 shown]
	global_load_dwordx4 v[34:37], v42, s[12:13]
	ds_read_b128 v[38:41], v59 offset:4320
	ds_read_b128 v[42:45], v59 offset:8640
	;; [unrolled: 1-line block ×8, first 2 shown]
	v_mov_b32_e32 v56, 4
	v_mul_u32_u24_sdwa v4, v4, v58 dst_sel:DWORD dst_unused:UNUSED_PAD src0_sel:WORD_0 src1_sel:DWORD
	v_lshlrev_b32_sdwa v5, v56, v5 dst_sel:DWORD dst_unused:UNUSED_PAD src0_sel:DWORD src1_sel:BYTE_0
	v_add3_u32 v4, 0, v4, v5
	s_waitcnt vmcnt(8) lgkmcnt(7)
	v_mul_f64 v[46:47], v[40:41], v[2:3]
	s_waitcnt vmcnt(7) lgkmcnt(6)
	v_mul_f64 v[84:85], v[44:45], v[8:9]
	;; [unrolled: 2-line block ×3, first 2 shown]
	v_mul_f64 v[12:13], v[60:61], v[12:13]
	v_mul_f64 v[2:3], v[38:39], v[2:3]
	;; [unrolled: 1-line block ×3, first 2 shown]
	s_waitcnt vmcnt(3) lgkmcnt(2)
	v_mul_f64 v[88:89], v[74:75], v[24:25]
	v_mul_f64 v[24:25], v[72:73], v[24:25]
	s_waitcnt vmcnt(2) lgkmcnt(1)
	v_mul_f64 v[90:91], v[78:79], v[28:29]
	v_mul_f64 v[28:29], v[76:77], v[28:29]
	v_fma_f64 v[38:39], v[38:39], v[0:1], v[46:47]
	v_mul_f64 v[46:47], v[70:71], v[16:17]
	v_mul_f64 v[16:17], v[68:69], v[16:17]
	v_fma_f64 v[42:43], v[42:43], v[6:7], v[84:85]
	v_mul_f64 v[84:85], v[66:67], v[20:21]
	v_fma_f64 v[60:61], v[60:61], v[10:11], v[86:87]
	v_fma_f64 v[10:11], v[62:63], v[10:11], -v[12:13]
	s_waitcnt vmcnt(1) lgkmcnt(0)
	v_mul_f64 v[12:13], v[82:83], v[32:33]
	v_mul_f64 v[20:21], v[64:65], v[20:21]
	;; [unrolled: 1-line block ×3, first 2 shown]
	v_fma_f64 v[40:41], v[40:41], v[0:1], -v[2:3]
	ds_read_b128 v[0:3], v59 offset:2160
	v_fma_f64 v[44:45], v[44:45], v[6:7], -v[8:9]
	ds_read_b128 v[6:9], v59
	s_waitcnt vmcnt(0) lgkmcnt(0)
	s_barrier
	buffer_gl0_inv
	v_fma_f64 v[46:47], v[68:69], v[14:15], v[46:47]
	v_fma_f64 v[14:15], v[70:71], v[14:15], -v[16:17]
	v_fma_f64 v[62:63], v[64:65], v[18:19], v[84:85]
	v_fma_f64 v[64:65], v[72:73], v[22:23], v[88:89]
	v_fma_f64 v[22:23], v[74:75], v[22:23], -v[24:25]
	v_fma_f64 v[24:25], v[76:77], v[26:27], v[90:91]
	v_fma_f64 v[12:13], v[80:81], v[30:31], v[12:13]
	v_mul_f64 v[16:17], v[2:3], v[36:37]
	v_mul_f64 v[36:37], v[0:1], v[36:37]
	v_fma_f64 v[26:27], v[78:79], v[26:27], -v[28:29]
	v_fma_f64 v[18:19], v[66:67], v[18:19], -v[20:21]
	;; [unrolled: 1-line block ×3, first 2 shown]
	v_add_f64 v[30:31], v[44:45], v[10:11]
	v_add_f64 v[66:67], v[42:43], -v[38:39]
	v_add_f64 v[70:71], v[40:41], -v[44:45]
	;; [unrolled: 1-line block ×3, first 2 shown]
	v_add_f64 v[90:91], v[6:7], v[38:39]
	v_add_f64 v[92:93], v[8:9], v[40:41]
	;; [unrolled: 1-line block ×4, first 2 shown]
	v_add_f64 v[68:69], v[60:61], -v[46:47]
	v_add_f64 v[72:73], v[14:15], -v[10:11]
	;; [unrolled: 1-line block ×6, first 2 shown]
	v_fma_f64 v[0:1], v[0:1], v[34:35], v[16:17]
	v_add_f64 v[16:17], v[42:43], v[60:61]
	v_fma_f64 v[2:3], v[2:3], v[34:35], -v[36:37]
	v_add_f64 v[34:35], v[38:39], -v[42:43]
	v_add_f64 v[36:37], v[46:47], -v[60:61]
	v_add_f64 v[82:83], v[22:23], v[26:27]
	v_add_f64 v[86:87], v[24:25], -v[12:13]
	v_add_f64 v[88:89], v[18:19], v[20:21]
	v_add_f64 v[40:41], v[40:41], -v[14:15]
	v_add_f64 v[38:39], v[38:39], -v[46:47]
	v_add_f64 v[92:93], v[92:93], v[44:45]
	v_add_f64 v[44:45], v[44:45], -v[10:11]
	v_add_f64 v[90:91], v[90:91], v[42:43]
	;; [unrolled: 2-line block ×4, first 2 shown]
	v_add_f64 v[72:73], v[64:65], v[24:25]
	v_add_f64 v[74:75], v[74:75], v[76:77]
	v_add_f64 v[76:77], v[62:63], -v[12:13]
	v_add_f64 v[78:79], v[78:79], v[80:81]
	v_fma_f64 v[16:17], v[16:17], -0.5, v[6:7]
	v_fma_f64 v[6:7], v[28:29], -0.5, v[6:7]
	;; [unrolled: 1-line block ×4, first 2 shown]
	v_add_f64 v[30:31], v[18:19], -v[22:23]
	v_add_f64 v[32:33], v[20:21], -v[26:27]
	v_add_f64 v[34:35], v[34:35], v[36:37]
	v_add_f64 v[36:37], v[22:23], -v[18:19]
	v_fma_f64 v[80:81], v[82:83], -0.5, v[2:3]
	v_add_f64 v[82:83], v[62:63], v[12:13]
	v_add_f64 v[84:85], v[84:85], v[86:87]
	v_add_f64 v[86:87], v[64:65], -v[24:25]
	v_fma_f64 v[88:89], v[88:89], -0.5, v[2:3]
	v_add_f64 v[62:63], v[0:1], v[62:63]
	v_add_f64 v[2:3], v[2:3], v[18:19]
	v_add_f64 v[18:19], v[18:19], -v[20:21]
	v_add_f64 v[10:11], v[92:93], v[10:11]
	v_add_f64 v[30:31], v[30:31], v[32:33]
	v_add_f64 v[32:33], v[22:23], -v[26:27]
	v_add_f64 v[36:37], v[36:37], v[68:69]
	v_fma_f64 v[68:69], v[76:77], s[0:1], v[80:81]
	v_fma_f64 v[80:81], v[76:77], s[4:5], v[80:81]
	v_fma_f64 v[82:83], v[82:83], -0.5, v[0:1]
	v_fma_f64 v[0:1], v[72:73], -0.5, v[0:1]
	v_fma_f64 v[72:73], v[86:87], s[4:5], v[88:89]
	v_fma_f64 v[88:89], v[86:87], s[0:1], v[88:89]
	v_add_f64 v[62:63], v[62:63], v[64:65]
	v_add_f64 v[2:3], v[2:3], v[22:23]
	v_fma_f64 v[22:23], v[40:41], s[4:5], v[16:17]
	v_fma_f64 v[16:17], v[40:41], s[0:1], v[16:17]
	;; [unrolled: 1-line block ×4, first 2 shown]
	v_add_f64 v[14:15], v[10:11], v[14:15]
	v_fma_f64 v[68:69], v[86:87], s[8:9], v[68:69]
	v_fma_f64 v[80:81], v[86:87], s[6:7], v[80:81]
	;; [unrolled: 1-line block ×8, first 2 shown]
	v_add_f64 v[24:25], v[62:63], v[24:25]
	v_add_f64 v[2:3], v[2:3], v[26:27]
	v_fma_f64 v[22:23], v[44:45], s[6:7], v[22:23]
	v_fma_f64 v[16:17], v[44:45], s[8:9], v[16:17]
	;; [unrolled: 1-line block ×16, first 2 shown]
	v_add_f64 v[32:33], v[90:91], v[60:61]
	v_add_f64 v[10:11], v[24:25], v[12:13]
	;; [unrolled: 1-line block ×3, first 2 shown]
	v_fma_f64 v[20:21], v[34:35], s[14:15], v[22:23]
	v_mul_f64 v[60:61], v[68:69], s[6:7]
	v_mul_f64 v[64:65], v[68:69], s[16:17]
	v_fma_f64 v[44:45], v[84:85], s[14:15], v[86:87]
	v_fma_f64 v[18:19], v[84:85], s[14:15], v[18:19]
	;; [unrolled: 1-line block ×5, first 2 shown]
	v_mul_f64 v[62:63], v[72:73], s[4:5]
	v_mul_f64 v[72:73], v[72:73], s[14:15]
	v_fma_f64 v[68:69], v[38:39], s[8:9], v[76:77]
	v_mul_f64 v[76:77], v[36:37], s[4:5]
	v_fma_f64 v[8:9], v[38:39], s[6:7], v[8:9]
	v_mul_f64 v[36:37], v[36:37], s[18:19]
	v_fma_f64 v[0:1], v[78:79], s[14:15], v[0:1]
	v_mul_f64 v[38:39], v[30:31], s[6:7]
	v_mul_f64 v[30:31], v[30:31], s[20:21]
	v_add_f64 v[32:33], v[32:33], v[46:47]
	v_fma_f64 v[46:47], v[34:35], s[14:15], v[16:17]
	v_fma_f64 v[34:35], v[66:67], s[14:15], v[26:27]
	v_add_f64 v[12:13], v[14:15], -v[2:3]
	v_fma_f64 v[24:25], v[70:71], s[14:15], v[40:41]
	v_fma_f64 v[22:23], v[42:43], s[16:17], v[60:61]
	;; [unrolled: 1-line block ×13, first 2 shown]
	v_add_f64 v[6:7], v[32:33], v[10:11]
	v_add_f64 v[8:9], v[14:15], v[2:3]
	v_add_f64 v[10:11], v[32:33], -v[10:11]
	v_cmp_gt_u32_e64 s0, 45, v52
	v_add_f64 v[14:15], v[20:21], v[22:23]
	v_add_f64 v[16:17], v[24:25], v[26:27]
	;; [unrolled: 1-line block ×3, first 2 shown]
	v_add_f64 v[22:23], v[20:21], -v[22:23]
	v_add_f64 v[20:21], v[60:61], v[44:45]
	v_add_f64 v[24:25], v[24:25], -v[26:27]
	v_add_f64 v[26:27], v[42:43], v[62:63]
	v_add_f64 v[30:31], v[34:35], -v[40:41]
	v_add_f64 v[32:33], v[60:61], -v[44:45]
	v_add_f64 v[28:29], v[66:67], v[70:71]
	v_add_f64 v[34:35], v[46:47], v[68:69]
	;; [unrolled: 1-line block ×3, first 2 shown]
	v_add_f64 v[38:39], v[42:43], -v[62:63]
	v_add_f64 v[40:41], v[66:67], -v[70:71]
	v_add_f64 v[0:1], v[46:47], -v[68:69]
	v_add_f64 v[2:3], v[64:65], -v[72:73]
	ds_write_b128 v4, v[6:9]
	ds_write_b128 v4, v[10:13] offset:400
	ds_write_b128 v4, v[14:17] offset:80
	;; [unrolled: 1-line block ×9, first 2 shown]
	s_waitcnt lgkmcnt(0)
	s_barrier
	buffer_gl0_inv
	ds_read_b128 v[12:15], v59
	ds_read_b128 v[8:11], v59 offset:2160
	ds_read_b128 v[40:43], v59 offset:14400
	;; [unrolled: 1-line block ×8, first 2 shown]
                                        ; implicit-def: $vgpr30_vgpr31
                                        ; implicit-def: $vgpr26_vgpr27
	s_and_saveexec_b32 s1, s0
	s_cbranch_execz .LBB0_21
; %bb.20:
	ds_read_b128 v[0:3], v59 offset:6480
	ds_read_b128 v[24:27], v59 offset:13680
	ds_read_b128 v[28:31], v59 offset:20880
.LBB0_21:
	s_or_b32 exec_lo, exec_lo, s1
	v_mul_lo_u16 v54, v54, 41
	v_mov_b32_e32 v79, 5
	v_mov_b32_e32 v80, 0x147b
	s_mov_b32 s4, 0xe8584caa
	s_mov_b32 s5, 0xbfebb67a
	v_lshrrev_b16 v58, 11, v54
	s_mov_b32 s7, 0x3febb67a
	s_mov_b32 s6, s4
	v_mul_lo_u16 v54, v58, 50
	v_sub_nc_u16 v97, v52, v54
	v_lshrrev_b16 v54, 1, v55
	v_lshlrev_b32_sdwa v60, v79, v97 dst_sel:DWORD dst_unused:UNUSED_PAD src0_sel:DWORD src1_sel:BYTE_0
	v_mul_u32_u24_sdwa v54, v54, v80 dst_sel:DWORD dst_unused:UNUSED_PAD src0_sel:WORD_0 src1_sel:DWORD
	s_clause 0x1
	global_load_dwordx4 v[61:64], v60, s[12:13] offset:720
	global_load_dwordx4 v[65:68], v60, s[12:13] offset:736
	v_lshrrev_b32_e32 v98, 17, v54
	v_lshrrev_b16 v60, 1, v57
	v_mul_lo_u16 v54, v98, 50
	v_mul_u32_u24_sdwa v81, v60, v80 dst_sel:DWORD dst_unused:UNUSED_PAD src0_sel:WORD_0 src1_sel:DWORD
	v_sub_nc_u16 v99, v55, v54
	v_lshrrev_b32_e32 v100, 17, v81
	v_lshlrev_b32_sdwa v54, v79, v99 dst_sel:DWORD dst_unused:UNUSED_PAD src0_sel:DWORD src1_sel:WORD_0
	v_mul_lo_u16 v81, v100, 50
	s_clause 0x1
	global_load_dwordx4 v[69:72], v54, s[12:13] offset:720
	global_load_dwordx4 v[73:76], v54, s[12:13] offset:736
	v_lshrrev_b16 v54, 1, v53
	v_sub_nc_u16 v101, v57, v81
	v_mul_u32_u24_sdwa v80, v54, v80 dst_sel:DWORD dst_unused:UNUSED_PAD src0_sel:WORD_0 src1_sel:DWORD
	v_lshlrev_b32_sdwa v85, v79, v101 dst_sel:DWORD dst_unused:UNUSED_PAD src0_sel:DWORD src1_sel:WORD_0
	v_lshrrev_b32_e32 v81, 17, v80
	s_waitcnt vmcnt(3) lgkmcnt(4)
	v_mul_f64 v[77:78], v[46:47], v[63:64]
	v_mul_f64 v[63:64], v[44:45], v[63:64]
	s_waitcnt vmcnt(2)
	v_mul_f64 v[79:80], v[42:43], v[67:68]
	v_mul_f64 v[67:68], v[40:41], v[67:68]
	v_fma_f64 v[77:78], v[44:45], v[61:62], v[77:78]
	v_fma_f64 v[45:46], v[46:47], v[61:62], -v[63:64]
	global_load_dwordx4 v[61:64], v85, s[12:13] offset:720
	v_mul_lo_u16 v44, v81, 50
	s_waitcnt vmcnt(2) lgkmcnt(2)
	v_mul_f64 v[81:82], v[38:39], v[71:72]
	v_mul_f64 v[71:72], v[36:37], v[71:72]
	v_fma_f64 v[79:80], v[40:41], v[65:66], v[79:80]
	v_fma_f64 v[83:84], v[42:43], v[65:66], -v[67:68]
	v_sub_nc_u16 v44, v53, v44
	v_and_b32_e32 v44, 0xffff, v44
	v_lshlrev_b32_e32 v47, 5, v44
	s_clause 0x1
	global_load_dwordx4 v[40:43], v85, s[12:13] offset:736
	global_load_dwordx4 v[65:68], v47, s[12:13] offset:720
	v_fma_f64 v[81:82], v[36:37], v[69:70], v[81:82]
	v_fma_f64 v[69:70], v[38:39], v[69:70], -v[71:72]
	global_load_dwordx4 v[36:39], v47, s[12:13] offset:736
	s_waitcnt vmcnt(4)
	v_mul_f64 v[71:72], v[34:35], v[75:76]
	v_mul_f64 v[75:76], v[32:33], v[75:76]
	v_mov_b32_e32 v47, 0x960
	s_waitcnt vmcnt(0) lgkmcnt(0)
	s_barrier
	buffer_gl0_inv
	v_fma_f64 v[32:33], v[32:33], v[73:74], v[71:72]
	v_fma_f64 v[34:35], v[34:35], v[73:74], -v[75:76]
	v_mul_f64 v[85:86], v[22:23], v[63:64]
	v_mul_f64 v[63:64], v[20:21], v[63:64]
	;; [unrolled: 1-line block ×5, first 2 shown]
	v_fma_f64 v[20:21], v[20:21], v[61:62], v[85:86]
	v_fma_f64 v[22:23], v[22:23], v[61:62], -v[63:64]
	v_mul_f64 v[63:64], v[24:25], v[67:68]
	v_add_f64 v[67:68], v[8:9], v[81:82]
	v_mul_f64 v[61:62], v[30:31], v[38:39]
	v_mul_f64 v[38:39], v[28:29], v[38:39]
	v_fma_f64 v[16:17], v[16:17], v[40:41], v[71:72]
	v_fma_f64 v[18:19], v[18:19], v[40:41], -v[42:43]
	v_fma_f64 v[24:25], v[24:25], v[65:66], v[73:74]
	v_add_f64 v[40:41], v[81:82], v[32:33]
	v_add_f64 v[42:43], v[69:70], v[34:35]
	v_fma_f64 v[26:27], v[26:27], v[65:66], -v[63:64]
	v_add_f64 v[63:64], v[14:15], v[45:46]
	v_fma_f64 v[28:29], v[28:29], v[36:37], v[61:62]
	v_fma_f64 v[30:31], v[30:31], v[36:37], -v[38:39]
	v_add_f64 v[36:37], v[77:78], v[79:80]
	v_add_f64 v[38:39], v[45:46], v[83:84]
	;; [unrolled: 1-line block ×5, first 2 shown]
	v_add_f64 v[45:46], v[45:46], -v[83:84]
	v_add_f64 v[77:78], v[77:78], -v[79:80]
	;; [unrolled: 1-line block ×4, first 2 shown]
	v_add_f64 v[65:66], v[20:21], v[16:17]
	v_add_f64 v[71:72], v[22:23], v[18:19]
	;; [unrolled: 1-line block ×3, first 2 shown]
	v_fma_f64 v[40:41], v[40:41], -0.5, v[8:9]
	v_fma_f64 v[42:43], v[42:43], -0.5, v[10:11]
	v_add_f64 v[91:92], v[2:3], v[26:27]
	v_add_f64 v[20:21], v[20:21], -v[16:17]
	v_add_f64 v[75:76], v[24:25], v[28:29]
	v_add_f64 v[87:88], v[26:27], v[30:31]
	v_fma_f64 v[36:37], v[36:37], -0.5, v[12:13]
	v_fma_f64 v[38:39], v[38:39], -0.5, v[14:15]
	v_add_f64 v[14:15], v[6:7], v[22:23]
	v_add_f64 v[22:23], v[22:23], -v[18:19]
	v_add_f64 v[93:94], v[26:27], -v[30:31]
	;; [unrolled: 1-line block ×3, first 2 shown]
	v_add_f64 v[8:9], v[67:68], v[32:33]
	v_add_f64 v[10:11], v[73:74], v[34:35]
	;; [unrolled: 1-line block ×3, first 2 shown]
	v_fma_f64 v[65:66], v[65:66], -0.5, v[4:5]
	v_fma_f64 v[71:72], v[71:72], -0.5, v[6:7]
	v_add_f64 v[4:5], v[61:62], v[79:80]
	v_add_f64 v[6:7], v[63:64], v[83:84]
	v_fma_f64 v[32:33], v[69:70], s[4:5], v[40:41]
	v_fma_f64 v[34:35], v[81:82], s[6:7], v[42:43]
	v_fma_f64 v[75:76], v[75:76], -0.5, v[0:1]
	v_fma_f64 v[79:80], v[87:88], -0.5, v[2:3]
	v_add_f64 v[0:1], v[89:90], v[28:29]
	v_add_f64 v[2:3], v[91:92], v[30:31]
	;; [unrolled: 1-line block ×3, first 2 shown]
	v_fma_f64 v[24:25], v[45:46], s[4:5], v[36:37]
	v_fma_f64 v[28:29], v[45:46], s[6:7], v[36:37]
	;; [unrolled: 1-line block ×6, first 2 shown]
	v_mul_u32_u24_sdwa v45, v58, v47 dst_sel:DWORD dst_unused:UNUSED_PAD src0_sel:WORD_0 src1_sel:DWORD
	v_lshlrev_b32_sdwa v46, v56, v97 dst_sel:DWORD dst_unused:UNUSED_PAD src0_sel:DWORD src1_sel:BYTE_0
	v_mul_u32_u24_e32 v47, 0x960, v98
	v_lshlrev_b32_sdwa v58, v56, v99 dst_sel:DWORD dst_unused:UNUSED_PAD src0_sel:DWORD src1_sel:WORD_0
	v_fma_f64 v[40:41], v[22:23], s[4:5], v[65:66]
	v_fma_f64 v[61:62], v[22:23], s[6:7], v[65:66]
	;; [unrolled: 1-line block ×4, first 2 shown]
	v_add3_u32 v45, 0, v45, v46
	v_mul_u32_u24_e32 v46, 0x960, v100
	v_lshlrev_b32_sdwa v56, v56, v101 dst_sel:DWORD dst_unused:UNUSED_PAD src0_sel:DWORD src1_sel:WORD_0
	v_fma_f64 v[16:17], v[93:94], s[4:5], v[75:76]
	v_fma_f64 v[20:21], v[93:94], s[6:7], v[75:76]
	v_fma_f64 v[18:19], v[95:96], s[6:7], v[79:80]
	v_fma_f64 v[22:23], v[95:96], s[4:5], v[79:80]
	v_add3_u32 v47, 0, v47, v58
	ds_write_b128 v45, v[4:7]
	ds_write_b128 v45, v[24:27] offset:800
	v_add3_u32 v4, 0, v46, v56
	ds_write_b128 v45, v[28:31] offset:1600
	ds_write_b128 v47, v[8:11]
	ds_write_b128 v47, v[32:35] offset:800
	ds_write_b128 v47, v[36:39] offset:1600
	ds_write_b128 v4, v[12:15]
	ds_write_b128 v4, v[40:43] offset:800
	ds_write_b128 v4, v[61:64] offset:1600
	s_and_saveexec_b32 s1, s0
	s_cbranch_execz .LBB0_23
; %bb.22:
	v_lshl_add_u32 v4, v44, 4, 0
	ds_write_b128 v4, v[0:3] offset:19200
	ds_write_b128 v4, v[16:19] offset:20000
	ds_write_b128 v4, v[20:23] offset:20800
.LBB0_23:
	s_or_b32 exec_lo, exec_lo, s1
	s_waitcnt lgkmcnt(0)
	s_barrier
	buffer_gl0_inv
	ds_read_b128 v[12:15], v59
	ds_read_b128 v[4:7], v59 offset:2160
	ds_read_b128 v[40:43], v59 offset:14400
	;; [unrolled: 1-line block ×8, first 2 shown]
	s_and_saveexec_b32 s1, s0
	s_cbranch_execz .LBB0_25
; %bb.24:
	ds_read_b128 v[0:3], v59 offset:6480
	ds_read_b128 v[16:19], v59 offset:13680
	;; [unrolled: 1-line block ×3, first 2 shown]
.LBB0_25:
	s_or_b32 exec_lo, exec_lo, s1
	v_lshlrev_b32_e32 v69, 1, v52
	v_mov_b32_e32 v70, 0
	v_mov_b32_e32 v71, 0xda75
	;; [unrolled: 1-line block ×3, first 2 shown]
	s_mov_b32 s6, s4
	v_lshlrev_b64 v[61:62], 4, v[69:70]
	v_add_nc_u32_e32 v69, -15, v52
	v_mul_u32_u24_sdwa v60, v60, v71 dst_sel:DWORD dst_unused:UNUSED_PAD src0_sel:WORD_0 src1_sel:DWORD
	v_mul_u32_u24_sdwa v54, v54, v71 dst_sel:DWORD dst_unused:UNUSED_PAD src0_sel:WORD_0 src1_sel:DWORD
	v_add_co_u32 v56, s1, s12, v61
	v_add_co_ci_u32_e64 v58, s1, s13, v62, s1
	v_lshrrev_b32_e32 v100, 22, v60
	v_add_co_u32 v61, s1, 0x800, v56
	v_add_co_ci_u32_e64 v62, s1, 0, v58, s1
	v_add_co_u32 v65, s1, 0x910, v56
	v_add_co_ci_u32_e64 v66, s1, 0, v58, s1
	global_load_dwordx4 v[61:64], v[61:62], off offset:272
	v_cmp_gt_u32_e64 s1, 15, v52
	v_lshrrev_b32_e32 v54, 22, v54
	global_load_dwordx4 v[65:68], v[65:66], off offset:16
	v_mul_lo_u16 v73, 0x96, v100
	v_cndmask_b32_e64 v99, v69, v55, s1
	v_mul_lo_u16 v54, 0x96, v54
	v_sub_nc_u16 v101, v57, v73
	v_lshlrev_b32_e32 v69, 1, v99
	v_sub_nc_u16 v54, v53, v54
	v_lshlrev_b32_sdwa v75, v75, v101 dst_sel:DWORD dst_unused:UNUSED_PAD src0_sel:DWORD src1_sel:WORD_0
	v_lshlrev_b64 v[69:70], 4, v[69:70]
	v_and_b32_e32 v54, 0xffff, v54
	v_add_co_u32 v60, s1, s12, v69
	v_add_co_ci_u32_e64 v74, s1, s13, v70, s1
	v_lshlrev_b32_e32 v86, 5, v54
	v_add_co_u32 v69, s1, 0x800, v60
	v_add_co_ci_u32_e64 v70, s1, 0, v74, s1
	v_add_co_u32 v73, s1, 0x910, v60
	v_add_co_ci_u32_e64 v74, s1, 0, v74, s1
	global_load_dwordx4 v[69:72], v[69:70], off offset:272
	v_add_co_u32 v60, s1, s12, v75
	v_add_co_ci_u32_e64 v85, null, s13, 0, s1
	global_load_dwordx4 v[73:76], v[73:74], off offset:16
	v_add_co_u32 v79, s1, 0x800, v60
	v_add_co_ci_u32_e64 v80, s1, 0, v85, s1
	s_waitcnt vmcnt(3) lgkmcnt(4)
	v_mul_f64 v[77:78], v[46:47], v[63:64]
	v_mul_f64 v[63:64], v[44:45], v[63:64]
	v_fma_f64 v[77:78], v[44:45], v[61:62], v[77:78]
	v_fma_f64 v[83:84], v[46:47], v[61:62], -v[63:64]
	global_load_dwordx4 v[44:47], v[79:80], off offset:272
	v_add_co_u32 v62, s1, s12, v86
	v_add_co_ci_u32_e64 v63, null, s13, 0, s1
	v_add_co_u32 v60, s1, 0x910, v60
	v_add_co_ci_u32_e64 v61, s1, 0, v85, s1
	v_add_co_u32 v79, s1, 0x800, v62
	v_add_co_ci_u32_e64 v80, s1, 0, v63, s1
	v_add_co_u32 v85, s1, 0x910, v62
	v_add_co_ci_u32_e64 v86, s1, 0, v63, s1
	global_load_dwordx4 v[60:63], v[60:61], off offset:16
	s_waitcnt vmcnt(4)
	v_mul_f64 v[81:82], v[42:43], v[67:68]
	v_mul_f64 v[67:68], v[40:41], v[67:68]
	v_cmp_lt_u32_e64 s1, 14, v52
	v_fma_f64 v[81:82], v[40:41], v[65:66], v[81:82]
	v_fma_f64 v[87:88], v[42:43], v[65:66], -v[67:68]
	s_clause 0x1
	global_load_dwordx4 v[40:43], v[79:80], off offset:272
	global_load_dwordx4 v[64:67], v[85:86], off offset:16
	s_waitcnt vmcnt(5) lgkmcnt(2)
	v_mul_f64 v[79:80], v[38:39], v[71:72]
	v_mul_f64 v[71:72], v[36:37], v[71:72]
	s_waitcnt vmcnt(0) lgkmcnt(0)
	s_barrier
	buffer_gl0_inv
	v_fma_f64 v[36:37], v[36:37], v[69:70], v[79:80]
	v_fma_f64 v[38:39], v[38:39], v[69:70], -v[71:72]
	v_mul_f64 v[68:69], v[34:35], v[75:76]
	v_mul_f64 v[70:71], v[32:33], v[75:76]
	v_fma_f64 v[32:33], v[32:33], v[73:74], v[68:69]
	v_fma_f64 v[34:35], v[34:35], v[73:74], -v[70:71]
	v_add_f64 v[93:94], v[36:37], -v[32:33]
	v_mul_f64 v[75:76], v[30:31], v[46:47]
	v_mul_f64 v[46:47], v[28:29], v[46:47]
	;; [unrolled: 1-line block ×4, first 2 shown]
	v_fma_f64 v[28:29], v[28:29], v[44:45], v[75:76]
	v_fma_f64 v[30:31], v[30:31], v[44:45], -v[46:47]
	v_add_f64 v[74:75], v[77:78], -v[81:82]
	v_fma_f64 v[24:25], v[24:25], v[60:61], v[68:69]
	v_fma_f64 v[26:27], v[26:27], v[60:61], -v[62:63]
	v_mul_f64 v[70:71], v[18:19], v[42:43]
	v_mul_f64 v[72:73], v[22:23], v[66:67]
	;; [unrolled: 1-line block ×4, first 2 shown]
	v_add_f64 v[62:63], v[12:13], v[77:78]
	v_add_f64 v[66:67], v[83:84], -v[87:88]
	v_add_f64 v[85:86], v[10:11], v[30:31]
	v_add_f64 v[60:61], v[28:29], v[24:25]
	v_add_f64 v[97:98], v[28:29], -v[24:25]
	v_fma_f64 v[16:17], v[16:17], v[40:41], v[70:71]
	v_fma_f64 v[46:47], v[20:21], v[64:65], v[72:73]
	v_fma_f64 v[18:19], v[18:19], v[40:41], -v[42:43]
	v_fma_f64 v[40:41], v[22:23], v[64:65], -v[44:45]
	v_add_f64 v[20:21], v[77:78], v[81:82]
	v_add_f64 v[22:23], v[83:84], v[87:88]
	;; [unrolled: 1-line block ×9, first 2 shown]
	v_add_f64 v[38:39], v[38:39], -v[34:35]
	v_fma_f64 v[8:9], v[60:61], -0.5, v[8:9]
	v_add_f64 v[36:37], v[0:1], v[16:17]
	v_add_f64 v[68:69], v[16:17], v[46:47]
	v_add_f64 v[95:96], v[2:3], v[18:19]
	v_add_f64 v[72:73], v[18:19], v[40:41]
	v_fma_f64 v[89:90], v[20:21], -0.5, v[12:13]
	v_fma_f64 v[91:92], v[22:23], -0.5, v[14:15]
	;; [unrolled: 1-line block ×3, first 2 shown]
	v_add_f64 v[42:43], v[30:31], -v[26:27]
	v_fma_f64 v[6:7], v[44:45], -0.5, v[6:7]
	v_add_f64 v[12:13], v[62:63], v[81:82]
	v_fma_f64 v[10:11], v[64:65], -0.5, v[10:11]
	v_add_f64 v[60:61], v[18:19], -v[40:41]
	v_add_f64 v[64:65], v[16:17], -v[46:47]
	v_add_f64 v[14:15], v[70:71], v[87:88]
	v_add_f64 v[16:17], v[76:77], v[32:33]
	;; [unrolled: 1-line block ×5, first 2 shown]
	v_fma_f64 v[62:63], v[68:69], -0.5, v[0:1]
	v_add_f64 v[0:1], v[36:37], v[46:47]
	v_fma_f64 v[68:69], v[72:73], -0.5, v[2:3]
	v_fma_f64 v[24:25], v[66:67], s[4:5], v[89:90]
	v_fma_f64 v[28:29], v[66:67], s[6:7], v[89:90]
	;; [unrolled: 1-line block ×4, first 2 shown]
	v_add_f64 v[2:3], v[95:96], v[40:41]
	v_fma_f64 v[32:33], v[38:39], s[4:5], v[4:5]
	v_fma_f64 v[36:37], v[38:39], s[6:7], v[4:5]
	v_fma_f64 v[34:35], v[93:94], s[6:7], v[6:7]
	v_fma_f64 v[38:39], v[93:94], s[4:5], v[6:7]
	v_fma_f64 v[40:41], v[42:43], s[4:5], v[8:9]
	v_fma_f64 v[44:45], v[42:43], s[6:7], v[8:9]
	v_fma_f64 v[42:43], v[97:98], s[6:7], v[10:11]
	v_fma_f64 v[46:47], v[97:98], s[4:5], v[10:11]
	ds_write_b128 v59, v[12:15]
	ds_write_b128 v59, v[24:27] offset:2400
	v_fma_f64 v[4:5], v[60:61], s[4:5], v[62:63]
	v_fma_f64 v[8:9], v[60:61], s[6:7], v[62:63]
	;; [unrolled: 1-line block ×4, first 2 shown]
	v_mov_b32_e32 v60, 4
	v_cndmask_b32_e64 v61, 0, 0x1c20, s1
	v_lshlrev_b32_e32 v62, 4, v99
	v_mul_u32_u24_e32 v63, 0x1c20, v100
	v_lshlrev_b32_sdwa v60, v60, v101 dst_sel:DWORD dst_unused:UNUSED_PAD src0_sel:DWORD src1_sel:WORD_0
	v_add3_u32 v61, 0, v61, v62
	v_add3_u32 v12, 0, v63, v60
	ds_write_b128 v59, v[28:31] offset:4800
	ds_write_b128 v61, v[16:19]
	ds_write_b128 v61, v[32:35] offset:2400
	ds_write_b128 v61, v[36:39] offset:4800
	ds_write_b128 v12, v[20:23]
	ds_write_b128 v12, v[40:43] offset:2400
	ds_write_b128 v12, v[44:47] offset:4800
	s_and_saveexec_b32 s1, s0
	s_cbranch_execz .LBB0_27
; %bb.26:
	v_lshl_add_u32 v12, v54, 4, 0
	ds_write_b128 v12, v[0:3] offset:14400
	ds_write_b128 v12, v[4:7] offset:16800
	;; [unrolled: 1-line block ×3, first 2 shown]
.LBB0_27:
	s_or_b32 exec_lo, exec_lo, s1
	s_waitcnt lgkmcnt(0)
	s_barrier
	buffer_gl0_inv
	ds_read_b128 v[20:23], v59
	ds_read_b128 v[12:15], v59 offset:2160
	ds_read_b128 v[36:39], v59 offset:14400
	;; [unrolled: 1-line block ×8, first 2 shown]
	s_and_saveexec_b32 s1, s0
	s_cbranch_execz .LBB0_29
; %bb.28:
	ds_read_b128 v[0:3], v59 offset:6480
	ds_read_b128 v[4:7], v59 offset:13680
	;; [unrolled: 1-line block ×3, first 2 shown]
.LBB0_29:
	s_or_b32 exec_lo, exec_lo, s1
	v_lshlrev_b32_e32 v54, 1, v55
	v_mov_b32_e32 v55, 0
	v_add_co_u32 v60, s1, 0x1800, v56
	v_add_co_ci_u32_e64 v61, s1, 0, v58, s1
	v_lshlrev_b64 v[68:69], 4, v[54:55]
	v_add_co_u32 v64, s1, 0x1bd0, v56
	v_lshlrev_b32_e32 v54, 1, v57
	v_add_co_ci_u32_e64 v65, s1, 0, v58, s1
	v_add_co_u32 v58, s1, s12, v68
	v_add_co_ci_u32_e64 v68, s1, s13, v69, s1
	v_lshlrev_b64 v[56:57], 4, v[54:55]
	v_add_co_u32 v72, s1, 0x1bd0, v58
	v_add_co_ci_u32_e64 v73, s1, 0, v68, s1
	s_clause 0x1
	global_load_dwordx4 v[60:63], v[60:61], off offset:976
	global_load_dwordx4 v[64:67], v[64:65], off offset:16
	v_add_co_u32 v54, s1, s12, v56
	v_add_co_ci_u32_e64 v69, s1, s13, v57, s1
	v_add_co_u32 v56, s1, 0x1800, v58
	v_add_co_ci_u32_e64 v57, s1, 0, v68, s1
	;; [unrolled: 2-line block ×4, first 2 shown]
	s_clause 0x3
	global_load_dwordx4 v[68:71], v[56:57], off offset:976
	global_load_dwordx4 v[72:75], v[72:73], off offset:16
	;; [unrolled: 1-line block ×4, first 2 shown]
	s_mov_b32 s6, s4
	s_waitcnt vmcnt(0) lgkmcnt(0)
	s_barrier
	buffer_gl0_inv
	v_mul_f64 v[56:57], v[46:47], v[62:63]
	v_mul_f64 v[84:85], v[38:39], v[66:67]
	;; [unrolled: 1-line block ×12, first 2 shown]
	v_fma_f64 v[44:45], v[44:45], v[60:61], v[56:57]
	v_fma_f64 v[36:37], v[36:37], v[64:65], v[84:85]
	v_fma_f64 v[46:47], v[46:47], v[60:61], -v[62:63]
	v_fma_f64 v[38:39], v[38:39], v[64:65], -v[66:67]
	v_fma_f64 v[40:41], v[40:41], v[68:69], v[86:87]
	v_fma_f64 v[24:25], v[24:25], v[72:73], v[88:89]
	v_fma_f64 v[42:43], v[42:43], v[68:69], -v[70:71]
	v_fma_f64 v[26:27], v[26:27], v[72:73], -v[74:75]
	;; [unrolled: 4-line block ×3, first 2 shown]
	v_add_f64 v[70:71], v[20:21], v[44:45]
	v_add_f64 v[56:57], v[44:45], v[36:37]
	v_add_f64 v[44:45], v[44:45], -v[36:37]
	v_add_f64 v[60:61], v[46:47], v[38:39]
	v_add_f64 v[72:73], v[46:47], -v[38:39]
	v_add_f64 v[46:47], v[22:23], v[46:47]
	v_add_f64 v[74:75], v[12:13], v[40:41]
	;; [unrolled: 1-line block ×9, first 2 shown]
	v_add_f64 v[42:43], v[42:43], -v[26:27]
	v_fma_f64 v[56:57], v[56:57], -0.5, v[20:21]
	v_add_f64 v[40:41], v[40:41], -v[24:25]
	v_fma_f64 v[60:61], v[60:61], -0.5, v[22:23]
	v_add_f64 v[82:83], v[30:31], -v[34:35]
	v_add_f64 v[84:85], v[28:29], -v[32:33]
	v_fma_f64 v[62:63], v[62:63], -0.5, v[12:13]
	v_add_f64 v[12:13], v[70:71], v[36:37]
	v_fma_f64 v[64:65], v[64:65], -0.5, v[14:15]
	v_add_f64 v[14:15], v[46:47], v[38:39]
	;; [unrolled: 2-line block ×4, first 2 shown]
	v_add_f64 v[20:21], v[78:79], v[32:33]
	v_add_f64 v[22:23], v[80:81], v[34:35]
	v_fma_f64 v[24:25], v[72:73], s[4:5], v[56:57]
	v_fma_f64 v[26:27], v[44:45], s[6:7], v[60:61]
	;; [unrolled: 1-line block ×12, first 2 shown]
	ds_write_b128 v59, v[12:15]
	ds_write_b128 v59, v[16:19] offset:2160
	ds_write_b128 v59, v[20:23] offset:4320
	;; [unrolled: 1-line block ×8, first 2 shown]
	s_and_saveexec_b32 s1, s0
	s_cbranch_execz .LBB0_31
; %bb.30:
	v_subrev_nc_u32_e32 v12, 45, v52
	v_cndmask_b32_e64 v12, v12, v53, s0
	v_lshlrev_b32_e32 v54, 1, v12
	v_lshlrev_b64 v[12:13], 4, v[54:55]
	v_add_co_u32 v14, s0, s12, v12
	v_add_co_ci_u32_e64 v15, s0, s13, v13, s0
	v_add_co_u32 v12, s0, 0x1800, v14
	v_add_co_ci_u32_e64 v13, s0, 0, v15, s0
	;; [unrolled: 2-line block ×3, first 2 shown]
	s_clause 0x1
	global_load_dwordx4 v[12:15], v[12:13], off offset:976
	global_load_dwordx4 v[16:19], v[16:17], off offset:16
	s_waitcnt vmcnt(1)
	v_mul_f64 v[20:21], v[4:5], v[14:15]
	s_waitcnt vmcnt(0)
	v_mul_f64 v[22:23], v[8:9], v[18:19]
	v_mul_f64 v[14:15], v[6:7], v[14:15]
	;; [unrolled: 1-line block ×3, first 2 shown]
	v_fma_f64 v[6:7], v[6:7], v[12:13], -v[20:21]
	v_fma_f64 v[10:11], v[10:11], v[16:17], -v[22:23]
	v_fma_f64 v[4:5], v[4:5], v[12:13], v[14:15]
	v_fma_f64 v[8:9], v[8:9], v[16:17], v[18:19]
	v_add_f64 v[18:19], v[2:3], v[6:7]
	v_add_f64 v[12:13], v[6:7], v[10:11]
	v_add_f64 v[20:21], v[6:7], -v[10:11]
	v_add_f64 v[14:15], v[4:5], v[8:9]
	v_add_f64 v[16:17], v[4:5], -v[8:9]
	v_add_f64 v[4:5], v[0:1], v[4:5]
	v_fma_f64 v[12:13], v[12:13], -0.5, v[2:3]
	v_add_f64 v[2:3], v[18:19], v[10:11]
	v_fma_f64 v[14:15], v[14:15], -0.5, v[0:1]
	v_add_f64 v[0:1], v[4:5], v[8:9]
	v_fma_f64 v[10:11], v[16:17], s[6:7], v[12:13]
	v_fma_f64 v[6:7], v[16:17], s[4:5], v[12:13]
	;; [unrolled: 1-line block ×4, first 2 shown]
	ds_write_b128 v59, v[0:3] offset:6480
	ds_write_b128 v59, v[8:11] offset:13680
	;; [unrolled: 1-line block ×3, first 2 shown]
.LBB0_31:
	s_or_b32 exec_lo, exec_lo, s1
	s_waitcnt lgkmcnt(0)
	s_barrier
	buffer_gl0_inv
	s_and_saveexec_b32 s0, vcc_lo
	s_cbranch_execz .LBB0_33
; %bb.32:
	v_mul_lo_u32 v2, s3, v50
	v_mul_lo_u32 v3, s2, v51
	v_mad_u64_u32 v[0:1], null, s2, v50, 0
	v_mov_b32_e32 v53, 0
	v_lshl_add_u32 v30, v52, 4, 0
	v_lshlrev_b64 v[12:13], 4, v[48:49]
	v_add_nc_u32_e32 v14, 0x87, v52
	v_add_nc_u32_e32 v16, 0x10e, v52
	v_mov_b32_e32 v15, v53
	v_add3_u32 v1, v1, v3, v2
	v_lshlrev_b64 v[18:19], 4, v[52:53]
	v_mov_b32_e32 v17, v53
	v_add_nc_u32_e32 v28, 0x21c, v52
	v_mov_b32_e32 v29, v53
	v_lshlrev_b64 v[8:9], 4, v[0:1]
	ds_read_b128 v[0:3], v30
	ds_read_b128 v[4:7], v30 offset:2160
	v_add_co_u32 v20, vcc_lo, s10, v8
	v_add_co_ci_u32_e32 v21, vcc_lo, s11, v9, vcc_lo
	ds_read_b128 v[8:11], v30 offset:4320
	v_add_co_u32 v31, vcc_lo, v20, v12
	v_add_co_ci_u32_e32 v32, vcc_lo, v21, v13, vcc_lo
	v_lshlrev_b64 v[12:13], 4, v[14:15]
	v_add_co_u32 v20, vcc_lo, v31, v18
	v_lshlrev_b64 v[14:15], 4, v[16:17]
	v_add_nc_u32_e32 v16, 0x195, v52
	v_add_co_ci_u32_e32 v21, vcc_lo, v32, v19, vcc_lo
	v_add_co_u32 v22, vcc_lo, v31, v12
	v_add_co_ci_u32_e32 v23, vcc_lo, v32, v13, vcc_lo
	v_lshlrev_b64 v[26:27], 4, v[16:17]
	ds_read_b128 v[16:19], v30 offset:8640
	v_add_co_u32 v24, vcc_lo, v31, v14
	v_add_co_ci_u32_e32 v25, vcc_lo, v32, v15, vcc_lo
	ds_read_b128 v[12:15], v30 offset:6480
	s_waitcnt lgkmcnt(4)
	global_store_dwordx4 v[20:21], v[0:3], off
	s_waitcnt lgkmcnt(3)
	global_store_dwordx4 v[22:23], v[4:7], off
	;; [unrolled: 2-line block ×3, first 2 shown]
	v_lshlrev_b64 v[0:1], 4, v[28:29]
	v_add_co_u32 v2, vcc_lo, v31, v26
	v_add_co_ci_u32_e32 v3, vcc_lo, v32, v27, vcc_lo
	v_add_nc_u32_e32 v4, 0x2a3, v52
	v_mov_b32_e32 v5, v53
	v_add_co_u32 v6, vcc_lo, v31, v0
	v_add_co_ci_u32_e32 v7, vcc_lo, v32, v1, vcc_lo
	v_add_nc_u32_e32 v8, 0x32a, v52
	v_mov_b32_e32 v9, v53
	v_lshlrev_b64 v[4:5], 4, v[4:5]
	s_waitcnt lgkmcnt(1)
	global_store_dwordx4 v[6:7], v[16:19], off
	v_add_nc_u32_e32 v24, 0x438, v52
	v_mov_b32_e32 v25, v53
	v_lshlrev_b64 v[6:7], 4, v[8:9]
	s_waitcnt lgkmcnt(0)
	global_store_dwordx4 v[2:3], v[12:15], off
	v_add_co_u32 v20, vcc_lo, v31, v4
	v_add_nc_u32_e32 v12, 0x3b1, v52
	v_mov_b32_e32 v13, v53
	v_add_co_ci_u32_e32 v21, vcc_lo, v32, v5, vcc_lo
	v_add_co_u32 v22, vcc_lo, v31, v6
	ds_read_b128 v[0:3], v30 offset:10800
	v_add_co_ci_u32_e32 v23, vcc_lo, v32, v7, vcc_lo
	ds_read_b128 v[4:7], v30 offset:12960
	ds_read_b128 v[8:11], v30 offset:15120
	v_lshlrev_b64 v[26:27], 4, v[12:13]
	ds_read_b128 v[12:15], v30 offset:17280
	ds_read_b128 v[16:19], v30 offset:19440
	v_add_nc_u32_e32 v52, 0x4bf, v52
	v_lshlrev_b64 v[24:25], 4, v[24:25]
	v_add_co_u32 v26, vcc_lo, v31, v26
	v_lshlrev_b64 v[28:29], 4, v[52:53]
	v_add_co_ci_u32_e32 v27, vcc_lo, v32, v27, vcc_lo
	v_add_co_u32 v24, vcc_lo, v31, v24
	v_add_co_ci_u32_e32 v25, vcc_lo, v32, v25, vcc_lo
	v_add_co_u32 v28, vcc_lo, v31, v28
	v_add_co_ci_u32_e32 v29, vcc_lo, v32, v29, vcc_lo
	s_waitcnt lgkmcnt(4)
	global_store_dwordx4 v[20:21], v[0:3], off
	s_waitcnt lgkmcnt(3)
	global_store_dwordx4 v[22:23], v[4:7], off
	s_waitcnt lgkmcnt(2)
	global_store_dwordx4 v[26:27], v[8:11], off
	s_waitcnt lgkmcnt(1)
	global_store_dwordx4 v[24:25], v[12:15], off
	s_waitcnt lgkmcnt(0)
	global_store_dwordx4 v[28:29], v[16:19], off
.LBB0_33:
	s_endpgm
	.section	.rodata,"a",@progbits
	.p2align	6, 0x0
	.amdhsa_kernel fft_rtc_back_len1350_factors_5_10_3_3_3_wgs_135_tpt_135_halfLds_dp_op_CI_CI_unitstride_sbrr_C2R_dirReg
		.amdhsa_group_segment_fixed_size 0
		.amdhsa_private_segment_fixed_size 0
		.amdhsa_kernarg_size 104
		.amdhsa_user_sgpr_count 6
		.amdhsa_user_sgpr_private_segment_buffer 1
		.amdhsa_user_sgpr_dispatch_ptr 0
		.amdhsa_user_sgpr_queue_ptr 0
		.amdhsa_user_sgpr_kernarg_segment_ptr 1
		.amdhsa_user_sgpr_dispatch_id 0
		.amdhsa_user_sgpr_flat_scratch_init 0
		.amdhsa_user_sgpr_private_segment_size 0
		.amdhsa_wavefront_size32 1
		.amdhsa_uses_dynamic_stack 0
		.amdhsa_system_sgpr_private_segment_wavefront_offset 0
		.amdhsa_system_sgpr_workgroup_id_x 1
		.amdhsa_system_sgpr_workgroup_id_y 0
		.amdhsa_system_sgpr_workgroup_id_z 0
		.amdhsa_system_sgpr_workgroup_info 0
		.amdhsa_system_vgpr_workitem_id 0
		.amdhsa_next_free_vgpr 102
		.amdhsa_next_free_sgpr 27
		.amdhsa_reserve_vcc 1
		.amdhsa_reserve_flat_scratch 0
		.amdhsa_float_round_mode_32 0
		.amdhsa_float_round_mode_16_64 0
		.amdhsa_float_denorm_mode_32 3
		.amdhsa_float_denorm_mode_16_64 3
		.amdhsa_dx10_clamp 1
		.amdhsa_ieee_mode 1
		.amdhsa_fp16_overflow 0
		.amdhsa_workgroup_processor_mode 1
		.amdhsa_memory_ordered 1
		.amdhsa_forward_progress 0
		.amdhsa_shared_vgpr_count 0
		.amdhsa_exception_fp_ieee_invalid_op 0
		.amdhsa_exception_fp_denorm_src 0
		.amdhsa_exception_fp_ieee_div_zero 0
		.amdhsa_exception_fp_ieee_overflow 0
		.amdhsa_exception_fp_ieee_underflow 0
		.amdhsa_exception_fp_ieee_inexact 0
		.amdhsa_exception_int_div_zero 0
	.end_amdhsa_kernel
	.text
.Lfunc_end0:
	.size	fft_rtc_back_len1350_factors_5_10_3_3_3_wgs_135_tpt_135_halfLds_dp_op_CI_CI_unitstride_sbrr_C2R_dirReg, .Lfunc_end0-fft_rtc_back_len1350_factors_5_10_3_3_3_wgs_135_tpt_135_halfLds_dp_op_CI_CI_unitstride_sbrr_C2R_dirReg
                                        ; -- End function
	.section	.AMDGPU.csdata,"",@progbits
; Kernel info:
; codeLenInByte = 10652
; NumSgprs: 29
; NumVgprs: 102
; ScratchSize: 0
; MemoryBound: 0
; FloatMode: 240
; IeeeMode: 1
; LDSByteSize: 0 bytes/workgroup (compile time only)
; SGPRBlocks: 3
; VGPRBlocks: 12
; NumSGPRsForWavesPerEU: 29
; NumVGPRsForWavesPerEU: 102
; Occupancy: 9
; WaveLimiterHint : 1
; COMPUTE_PGM_RSRC2:SCRATCH_EN: 0
; COMPUTE_PGM_RSRC2:USER_SGPR: 6
; COMPUTE_PGM_RSRC2:TRAP_HANDLER: 0
; COMPUTE_PGM_RSRC2:TGID_X_EN: 1
; COMPUTE_PGM_RSRC2:TGID_Y_EN: 0
; COMPUTE_PGM_RSRC2:TGID_Z_EN: 0
; COMPUTE_PGM_RSRC2:TIDIG_COMP_CNT: 0
	.text
	.p2alignl 6, 3214868480
	.fill 48, 4, 3214868480
	.type	__hip_cuid_9cfe2444373bf27c,@object ; @__hip_cuid_9cfe2444373bf27c
	.section	.bss,"aw",@nobits
	.globl	__hip_cuid_9cfe2444373bf27c
__hip_cuid_9cfe2444373bf27c:
	.byte	0                               ; 0x0
	.size	__hip_cuid_9cfe2444373bf27c, 1

	.ident	"AMD clang version 19.0.0git (https://github.com/RadeonOpenCompute/llvm-project roc-6.4.0 25133 c7fe45cf4b819c5991fe208aaa96edf142730f1d)"
	.section	".note.GNU-stack","",@progbits
	.addrsig
	.addrsig_sym __hip_cuid_9cfe2444373bf27c
	.amdgpu_metadata
---
amdhsa.kernels:
  - .args:
      - .actual_access:  read_only
        .address_space:  global
        .offset:         0
        .size:           8
        .value_kind:     global_buffer
      - .offset:         8
        .size:           8
        .value_kind:     by_value
      - .actual_access:  read_only
        .address_space:  global
        .offset:         16
        .size:           8
        .value_kind:     global_buffer
      - .actual_access:  read_only
        .address_space:  global
        .offset:         24
        .size:           8
        .value_kind:     global_buffer
      - .actual_access:  read_only
        .address_space:  global
        .offset:         32
        .size:           8
        .value_kind:     global_buffer
      - .offset:         40
        .size:           8
        .value_kind:     by_value
      - .actual_access:  read_only
        .address_space:  global
        .offset:         48
        .size:           8
        .value_kind:     global_buffer
      - .actual_access:  read_only
        .address_space:  global
        .offset:         56
        .size:           8
        .value_kind:     global_buffer
      - .offset:         64
        .size:           4
        .value_kind:     by_value
      - .actual_access:  read_only
        .address_space:  global
        .offset:         72
        .size:           8
        .value_kind:     global_buffer
      - .actual_access:  read_only
        .address_space:  global
        .offset:         80
        .size:           8
        .value_kind:     global_buffer
      - .actual_access:  read_only
        .address_space:  global
        .offset:         88
        .size:           8
        .value_kind:     global_buffer
      - .actual_access:  write_only
        .address_space:  global
        .offset:         96
        .size:           8
        .value_kind:     global_buffer
    .group_segment_fixed_size: 0
    .kernarg_segment_align: 8
    .kernarg_segment_size: 104
    .language:       OpenCL C
    .language_version:
      - 2
      - 0
    .max_flat_workgroup_size: 135
    .name:           fft_rtc_back_len1350_factors_5_10_3_3_3_wgs_135_tpt_135_halfLds_dp_op_CI_CI_unitstride_sbrr_C2R_dirReg
    .private_segment_fixed_size: 0
    .sgpr_count:     29
    .sgpr_spill_count: 0
    .symbol:         fft_rtc_back_len1350_factors_5_10_3_3_3_wgs_135_tpt_135_halfLds_dp_op_CI_CI_unitstride_sbrr_C2R_dirReg.kd
    .uniform_work_group_size: 1
    .uses_dynamic_stack: false
    .vgpr_count:     102
    .vgpr_spill_count: 0
    .wavefront_size: 32
    .workgroup_processor_mode: 1
amdhsa.target:   amdgcn-amd-amdhsa--gfx1030
amdhsa.version:
  - 1
  - 2
...

	.end_amdgpu_metadata
